;; amdgpu-corpus repo=zjin-lcf/HeCBench kind=compiled arch=gfx906 opt=O3
	.amdgcn_target "amdgcn-amd-amdhsa--gfx906"
	.amdhsa_code_object_version 6
	.text
	.protected	_Z12vanGenuchtenPKdS0_PdS1_S1_i ; -- Begin function _Z12vanGenuchtenPKdS0_PdS1_S1_i
	.globl	_Z12vanGenuchtenPKdS0_PdS1_S1_i
	.p2align	8
	.type	_Z12vanGenuchtenPKdS0_PdS1_S1_i,@function
_Z12vanGenuchtenPKdS0_PdS1_S1_i:        ; @_Z12vanGenuchtenPKdS0_PdS1_S1_i
; %bb.0:
	s_load_dword s0, s[4:5], 0x3c
	s_load_dword s1, s[4:5], 0x28
	s_waitcnt lgkmcnt(0)
	s_and_b32 s0, s0, 0xffff
	s_mul_i32 s6, s6, s0
	v_add_u32_e32 v0, s6, v0
	v_cmp_gt_i32_e32 vcc, s1, v0
	s_and_saveexec_b64 s[0:1], vcc
	s_cbranch_execz .LBB0_6
; %bb.1:
	s_load_dwordx8 s[12:19], s[4:5], 0x0
	v_ashrrev_i32_e32 v1, 31, v0
	v_lshlrev_b64 v[0:1], 3, v[0:1]
	s_mov_b32 s0, 0
	s_mov_b32 s1, 0x40590000
	s_waitcnt lgkmcnt(0)
	v_mov_b32_e32 v3, s15
	v_add_co_u32_e32 v2, vcc, s14, v0
	v_addc_co_u32_e32 v3, vcc, v3, v1, vcc
	global_load_dwordx2 v[2:3], v[2:3], off
	s_load_dwordx2 s[10:11], s[4:5], 0x20
	v_mov_b32_e32 v4, 0xcccccccd
	v_mov_b32_e32 v5, 0x3fdccccc
	s_waitcnt vmcnt(0)
	v_mul_f64 v[2:3], v[2:3], s[0:1]
	v_cmp_gt_f64_e64 s[0:1], 0, v[2:3]
	s_and_saveexec_b64 s[14:15], s[0:1]
	s_cbranch_execz .LBB0_3
; %bb.2:
	s_mov_b32 s2, 0x47ae147b
	s_mov_b32 s3, 0xbf947ae1
	v_mul_f64 v[5:6], v[2:3], s[2:3]
	s_mov_b32 s6, 0x55555555
	s_mov_b32 s7, 0x3fe55555
	;; [unrolled: 1-line block ×7, first 2 shown]
	v_frexp_mant_f64_e32 v[7:8], v[5:6]
	s_mov_b32 s21, 0x3fbe25e4
	s_mov_b32 s22, 0x47e6c9c2
	;; [unrolled: 1-line block ×7, first 2 shown]
	v_cmp_gt_f64_e32 vcc, s[6:7], v[7:8]
	s_mov_b32 s28, 0x1c7792ce
	s_mov_b32 s29, 0x3fcc71c7
	;; [unrolled: 1-line block ×7, first 2 shown]
	v_cndmask_b32_e64 v9, 0, 1, vcc
	v_ldexp_f64 v[7:8], v[7:8], v9
	s_mov_b32 s36, s6
	s_mov_b32 s38, 0xd5df274d
	;; [unrolled: 1-line block ×7, first 2 shown]
	v_add_f64 v[9:10], v[7:8], 1.0
	v_add_f64 v[15:16], v[7:8], -1.0
	s_movk_i32 s33, 0x204
	s_mov_b32 s42, 0x652b82fe
	s_mov_b32 s43, 0x3ff71547
	;; [unrolled: 1-line block ×5, first 2 shown]
	v_rcp_f64_e32 v[11:12], v[9:10]
	v_add_f64 v[17:18], v[9:10], -1.0
	s_mov_b32 s48, s44
	s_mov_b32 s50, 0x6a5dcb37
	;; [unrolled: 1-line block ×7, first 2 shown]
	v_add_f64 v[7:8], v[7:8], -v[17:18]
	s_mov_b32 s62, 0x14761f6e
	s_mov_b32 s63, 0x3f2a01a0
	s_mov_b32 s64, 0x1852b7b0
	s_mov_b32 s65, 0x3f56c16c
	s_mov_b32 s66, 0x11122322
	s_mov_b32 s67, 0x3f811111
	v_fma_f64 v[13:14], -v[9:10], v[11:12], 1.0
	s_mov_b32 s68, 0x555502a1
	s_mov_b32 s69, 0x3fa55555
	;; [unrolled: 1-line block ×7, first 2 shown]
	v_fma_f64 v[11:12], v[13:14], v[11:12], v[11:12]
	s_mov_b32 s54, 0
	s_mov_b32 s56, 0
	;; [unrolled: 1-line block ×5, first 2 shown]
	v_fma_f64 v[13:14], -v[9:10], v[11:12], 1.0
	v_fma_f64 v[11:12], v[13:14], v[11:12], v[11:12]
	v_mul_f64 v[13:14], v[15:16], v[11:12]
	v_mul_f64 v[19:20], v[9:10], v[13:14]
	v_fma_f64 v[9:10], v[13:14], v[9:10], -v[19:20]
	v_fma_f64 v[7:8], v[13:14], v[7:8], v[9:10]
	v_add_f64 v[9:10], v[19:20], v[7:8]
	v_add_f64 v[17:18], v[15:16], -v[9:10]
	v_add_f64 v[19:20], v[9:10], -v[19:20]
	;; [unrolled: 1-line block ×5, first 2 shown]
	v_add_f64 v[7:8], v[7:8], v[9:10]
	v_add_f64 v[7:8], v[17:18], v[7:8]
	v_mul_f64 v[7:8], v[11:12], v[7:8]
	v_add_f64 v[11:12], v[13:14], v[7:8]
	v_add_f64 v[9:10], v[11:12], -v[13:14]
	v_mul_f64 v[13:14], v[11:12], v[11:12]
	v_add_f64 v[9:10], v[7:8], -v[9:10]
	v_fma_f64 v[7:8], v[11:12], v[11:12], -v[13:14]
	v_add_f64 v[15:16], v[9:10], v[9:10]
	v_fma_f64 v[15:16], v[11:12], v[15:16], v[7:8]
	v_mov_b32_e32 v8, s3
	v_mov_b32_e32 v7, s2
	s_mov_b32 s2, 0xfca7ab0c
	s_mov_b32 s3, 0x3e928af3
	v_add_f64 v[17:18], v[13:14], v[15:16]
	v_fma_f64 v[19:20], v[17:18], s[8:9], v[7:8]
	v_add_f64 v[13:14], v[17:18], -v[13:14]
	v_mul_f64 v[25:26], v[11:12], v[17:18]
	v_fma_f64 v[19:20], v[17:18], v[19:20], s[20:21]
	v_add_f64 v[13:14], v[15:16], -v[13:14]
	v_fma_f64 v[19:20], v[17:18], v[19:20], s[22:23]
	v_fma_f64 v[19:20], v[17:18], v[19:20], s[24:25]
	;; [unrolled: 1-line block ×6, first 2 shown]
	v_mul_f64 v[21:22], v[17:18], v[19:20]
	v_fma_f64 v[15:16], v[17:18], v[19:20], -v[21:22]
	v_fma_f64 v[15:16], v[13:14], v[19:20], v[15:16]
	v_add_f64 v[19:20], v[21:22], v[15:16]
	v_add_f64 v[23:24], v[19:20], s[6:7]
	v_add_f64 v[21:22], v[19:20], -v[21:22]
	v_add_f64 v[27:28], v[23:24], s[36:37]
	v_add_f64 v[15:16], v[15:16], -v[21:22]
	v_fma_f64 v[21:22], v[17:18], v[11:12], -v[25:26]
	v_add_f64 v[19:20], v[19:20], -v[27:28]
	v_add_f64 v[15:16], v[15:16], s[38:39]
	v_fma_f64 v[17:18], v[17:18], v[9:10], v[21:22]
	v_ldexp_f64 v[9:10], v[9:10], 1
	v_add_f64 v[15:16], v[15:16], v[19:20]
	v_fma_f64 v[13:14], v[13:14], v[11:12], v[17:18]
	v_ldexp_f64 v[11:12], v[11:12], 1
	v_add_f64 v[17:18], v[23:24], v[15:16]
	v_add_f64 v[19:20], v[25:26], v[13:14]
	v_add_f64 v[21:22], v[23:24], -v[17:18]
	v_mul_f64 v[23:24], v[19:20], v[17:18]
	v_add_f64 v[25:26], v[19:20], -v[25:26]
	v_add_f64 v[15:16], v[15:16], v[21:22]
	v_fma_f64 v[21:22], v[19:20], v[17:18], -v[23:24]
	v_add_f64 v[13:14], v[13:14], -v[25:26]
	v_fma_f64 v[15:16], v[19:20], v[15:16], v[21:22]
	v_fma_f64 v[13:14], v[13:14], v[17:18], v[15:16]
	v_frexp_exp_i32_f64_e32 v17, v[5:6]
	v_add_f64 v[15:16], v[23:24], v[13:14]
	v_subbrev_co_u32_e32 v21, vcc, 0, v17, vcc
	v_cvt_f64_i32_e32 v[21:22], v21
	v_cmp_eq_f64_e32 vcc, 1.0, v[5:6]
	v_add_f64 v[17:18], v[11:12], v[15:16]
	v_add_f64 v[19:20], v[15:16], -v[23:24]
	v_mul_f64 v[23:24], v[21:22], s[40:41]
	v_add_f64 v[11:12], v[17:18], -v[11:12]
	v_add_f64 v[13:14], v[13:14], -v[19:20]
	v_fma_f64 v[19:20], v[21:22], s[40:41], -v[23:24]
	v_add_f64 v[11:12], v[15:16], -v[11:12]
	v_add_f64 v[9:10], v[9:10], v[13:14]
	v_fma_f64 v[13:14], v[21:22], s[44:45], v[19:20]
	v_add_f64 v[9:10], v[9:10], v[11:12]
	v_add_f64 v[11:12], v[23:24], v[13:14]
	;; [unrolled: 1-line block ×3, first 2 shown]
	v_add_f64 v[23:24], v[11:12], -v[23:24]
	v_add_f64 v[19:20], v[11:12], v[15:16]
	v_add_f64 v[17:18], v[15:16], -v[17:18]
	v_add_f64 v[13:14], v[13:14], -v[23:24]
	;; [unrolled: 1-line block ×6, first 2 shown]
	v_add_f64 v[17:18], v[13:14], v[9:10]
	v_add_f64 v[11:12], v[11:12], -v[25:26]
	v_add_f64 v[11:12], v[15:16], v[11:12]
	v_add_f64 v[15:16], v[17:18], -v[13:14]
	;; [unrolled: 2-line block ×3, first 2 shown]
	v_add_f64 v[9:10], v[9:10], -v[15:16]
	v_add_f64 v[21:22], v[19:20], v[11:12]
	v_add_f64 v[13:14], v[13:14], -v[17:18]
	v_add_f64 v[15:16], v[21:22], -v[19:20]
	v_add_f64 v[9:10], v[9:10], v[13:14]
	v_mov_b32_e32 v14, 0x3ffccccc
	v_add_f64 v[11:12], v[11:12], -v[15:16]
	v_add_f64 v[9:10], v[9:10], v[11:12]
	v_mov_b32_e32 v11, 0x3ff00000
	v_cndmask_b32_e32 v15, v14, v11, vcc
	v_cndmask_b32_e64 v14, v4, 0, vcc
	v_add_f64 v[12:13], v[21:22], v[9:10]
	v_add_f64 v[16:17], v[12:13], -v[21:22]
	v_mul_f64 v[18:19], v[14:15], v[12:13]
	v_add_f64 v[9:10], v[9:10], -v[16:17]
	v_fma_f64 v[12:13], v[14:15], v[12:13], -v[18:19]
	v_cmp_class_f64_e64 vcc, v[18:19], s33
	v_fma_f64 v[13:14], v[14:15], v[9:10], v[12:13]
	v_mov_b32_e32 v12, 0x7ff00000
	v_add_f64 v[15:16], v[18:19], v[13:14]
	v_cndmask_b32_e32 v21, v16, v19, vcc
	v_cndmask_b32_e32 v20, v15, v18, vcc
	v_mul_f64 v[9:10], v[20:21], s[42:43]
	v_add_f64 v[15:16], v[15:16], -v[18:19]
	v_cmp_neq_f64_e64 vcc, |v[20:21]|, s[52:53]
	v_cmp_ngt_f64_e64 s[4:5], s[56:57], v[20:21]
	v_rndne_f64_e32 v[22:23], v[9:10]
	v_add_f64 v[13:14], v[13:14], -v[15:16]
	v_fma_f64 v[9:10], v[22:23], s[46:47], v[20:21]
	v_cvt_i32_f64_e32 v4, v[22:23]
	v_cndmask_b32_e32 v14, 0, v14, vcc
	v_cndmask_b32_e32 v13, 0, v13, vcc
	v_fma_f64 v[24:25], v[22:23], s[48:49], v[9:10]
	v_mov_b32_e32 v10, s3
	v_mov_b32_e32 v9, s2
	v_cmp_nlt_f64_e64 s[2:3], s[54:55], v[20:21]
	v_fma_f64 v[26:27], v[24:25], s[50:51], v[9:10]
	s_and_b64 vcc, s[4:5], s[2:3]
	v_fma_f64 v[26:27], v[24:25], v[26:27], s[58:59]
	v_fma_f64 v[26:27], v[24:25], v[26:27], s[60:61]
	;; [unrolled: 1-line block ×8, first 2 shown]
	v_fma_f64 v[26:27], v[24:25], v[26:27], 1.0
	v_fma_f64 v[24:25], v[24:25], v[26:27], 1.0
	v_ldexp_f64 v[17:18], v[24:25], v4
	v_cndmask_b32_e64 v4, v12, v18, s[2:3]
	v_cndmask_b32_e64 v16, 0, v4, s[4:5]
	v_cndmask_b32_e32 v15, 0, v17, vcc
	v_fma_f64 v[13:14], v[15:16], v[13:14], v[15:16]
	v_cmp_class_f64_e64 vcc, v[15:16], s33
	v_cmp_neq_f64_e64 s[2:3], 0, v[5:6]
	v_cndmask_b32_e32 v14, v14, v16, vcc
	v_cndmask_b32_e32 v13, v13, v15, vcc
	v_add_f64 v[13:14], |v[13:14]|, 1.0
	v_cmp_neq_f64_e32 vcc, s[52:53], v[5:6]
	v_cndmask_b32_e32 v4, v12, v14, vcc
	s_and_b64 vcc, s[2:3], vcc
	v_cndmask_b32_e64 v5, v11, v4, s[2:3]
	v_cndmask_b32_e32 v4, 0, v13, vcc
	v_frexp_mant_f64_e64 v[13:14], |v[4:5]|
	v_cmp_gt_f64_e32 vcc, s[6:7], v[13:14]
	v_cndmask_b32_e64 v6, 0, 1, vcc
	v_ldexp_f64 v[13:14], v[13:14], v6
	v_add_f64 v[15:16], v[13:14], 1.0
	v_add_f64 v[21:22], v[13:14], -1.0
	v_rcp_f64_e32 v[17:18], v[15:16]
	v_add_f64 v[23:24], v[15:16], -1.0
	v_add_f64 v[13:14], v[13:14], -v[23:24]
	v_fma_f64 v[19:20], -v[15:16], v[17:18], 1.0
	v_fma_f64 v[17:18], v[19:20], v[17:18], v[17:18]
	v_fma_f64 v[19:20], -v[15:16], v[17:18], 1.0
	v_fma_f64 v[17:18], v[19:20], v[17:18], v[17:18]
	v_mul_f64 v[19:20], v[21:22], v[17:18]
	v_mul_f64 v[25:26], v[15:16], v[19:20]
	v_fma_f64 v[15:16], v[19:20], v[15:16], -v[25:26]
	v_fma_f64 v[13:14], v[19:20], v[13:14], v[15:16]
	v_add_f64 v[15:16], v[25:26], v[13:14]
	v_add_f64 v[23:24], v[21:22], -v[15:16]
	v_add_f64 v[25:26], v[15:16], -v[25:26]
	;; [unrolled: 1-line block ×5, first 2 shown]
	v_add_f64 v[13:14], v[13:14], v[15:16]
	v_add_f64 v[13:14], v[23:24], v[13:14]
	v_mul_f64 v[13:14], v[17:18], v[13:14]
	v_add_f64 v[15:16], v[19:20], v[13:14]
	v_add_f64 v[17:18], v[15:16], -v[19:20]
	v_mul_f64 v[19:20], v[15:16], v[15:16]
	v_add_f64 v[13:14], v[13:14], -v[17:18]
	v_fma_f64 v[17:18], v[15:16], v[15:16], -v[19:20]
	v_add_f64 v[21:22], v[13:14], v[13:14]
	v_fma_f64 v[17:18], v[15:16], v[21:22], v[17:18]
	v_add_f64 v[21:22], v[19:20], v[17:18]
	v_fma_f64 v[6:7], v[21:22], s[8:9], v[7:8]
	v_add_f64 v[19:20], v[21:22], -v[19:20]
	v_mul_f64 v[27:28], v[15:16], v[21:22]
	v_frexp_exp_i32_f64_e32 v8, v[4:5]
	v_fma_f64 v[6:7], v[21:22], v[6:7], s[20:21]
	v_add_f64 v[17:18], v[17:18], -v[19:20]
	s_mov_b32 s20, 0x66666666
	v_subbrev_co_u32_e32 v8, vcc, 0, v8, vcc
	v_cmp_eq_f64_e32 vcc, 1.0, v[4:5]
	s_mov_b32 s21, 0x3fd66666
	v_fma_f64 v[6:7], v[21:22], v[6:7], s[22:23]
	v_cmp_class_f64_e64 s[22:23], v[4:5], s33
	v_fma_f64 v[6:7], v[21:22], v[6:7], s[24:25]
	s_brev_b32 s24, -2
	v_fma_f64 v[6:7], v[21:22], v[6:7], s[26:27]
	v_fma_f64 v[6:7], v[21:22], v[6:7], s[28:29]
	;; [unrolled: 1-line block ×4, first 2 shown]
	v_mul_f64 v[23:24], v[21:22], v[6:7]
	v_fma_f64 v[19:20], v[21:22], v[6:7], -v[23:24]
	v_fma_f64 v[6:7], v[17:18], v[6:7], v[19:20]
	v_add_f64 v[19:20], v[23:24], v[6:7]
	v_add_f64 v[25:26], v[19:20], s[6:7]
	v_add_f64 v[23:24], v[19:20], -v[23:24]
	v_add_f64 v[29:30], v[25:26], s[36:37]
	v_add_f64 v[6:7], v[6:7], -v[23:24]
	v_fma_f64 v[23:24], v[21:22], v[15:16], -v[27:28]
	v_add_f64 v[19:20], v[19:20], -v[29:30]
	v_add_f64 v[6:7], v[6:7], s[38:39]
	v_fma_f64 v[21:22], v[21:22], v[13:14], v[23:24]
	v_ldexp_f64 v[13:14], v[13:14], 1
	v_add_f64 v[6:7], v[6:7], v[19:20]
	v_fma_f64 v[17:18], v[17:18], v[15:16], v[21:22]
	v_ldexp_f64 v[15:16], v[15:16], 1
	v_add_f64 v[19:20], v[25:26], v[6:7]
	v_add_f64 v[21:22], v[27:28], v[17:18]
	v_add_f64 v[23:24], v[25:26], -v[19:20]
	v_mul_f64 v[25:26], v[21:22], v[19:20]
	v_add_f64 v[27:28], v[21:22], -v[27:28]
	v_add_f64 v[6:7], v[6:7], v[23:24]
	v_fma_f64 v[23:24], v[21:22], v[19:20], -v[25:26]
	v_add_f64 v[17:18], v[17:18], -v[27:28]
	v_fma_f64 v[6:7], v[21:22], v[6:7], v[23:24]
	v_cvt_f64_i32_e32 v[23:24], v8
	v_mov_b32_e32 v8, 0x3fdc71c7
	v_fma_f64 v[6:7], v[17:18], v[19:20], v[6:7]
	v_add_f64 v[17:18], v[25:26], v[6:7]
	v_add_f64 v[19:20], v[15:16], v[17:18]
	v_add_f64 v[21:22], v[17:18], -v[25:26]
	v_mul_f64 v[25:26], v[23:24], s[40:41]
	v_add_f64 v[15:16], v[19:20], -v[15:16]
	v_add_f64 v[6:7], v[6:7], -v[21:22]
	v_fma_f64 v[21:22], v[23:24], s[40:41], -v[25:26]
	v_add_f64 v[15:16], v[17:18], -v[15:16]
	v_add_f64 v[6:7], v[13:14], v[6:7]
	v_fma_f64 v[13:14], v[23:24], s[44:45], v[21:22]
	v_add_f64 v[6:7], v[6:7], v[15:16]
	v_add_f64 v[15:16], v[25:26], v[13:14]
	;; [unrolled: 1-line block ×3, first 2 shown]
	v_add_f64 v[25:26], v[15:16], -v[25:26]
	v_add_f64 v[21:22], v[15:16], v[17:18]
	v_add_f64 v[19:20], v[17:18], -v[19:20]
	v_add_f64 v[13:14], v[13:14], -v[25:26]
	v_add_f64 v[23:24], v[21:22], -v[15:16]
	v_add_f64 v[6:7], v[6:7], -v[19:20]
	v_add_f64 v[27:28], v[21:22], -v[23:24]
	v_add_f64 v[17:18], v[17:18], -v[23:24]
	v_add_f64 v[19:20], v[13:14], v[6:7]
	v_add_f64 v[15:16], v[15:16], -v[27:28]
	v_add_f64 v[15:16], v[17:18], v[15:16]
	v_add_f64 v[17:18], v[19:20], -v[13:14]
	;; [unrolled: 2-line block ×3, first 2 shown]
	v_add_f64 v[6:7], v[6:7], -v[17:18]
	v_add_f64 v[23:24], v[21:22], v[15:16]
	v_add_f64 v[13:14], v[13:14], -v[19:20]
	v_add_f64 v[17:18], v[23:24], -v[21:22]
	v_add_f64 v[6:7], v[6:7], v[13:14]
	v_add_f64 v[13:14], v[15:16], -v[17:18]
	v_mov_b32_e32 v15, 0x1c71c71d
	v_cndmask_b32_e32 v16, v8, v11, vcc
	v_cndmask_b32_e64 v15, v15, 0, vcc
	v_add_f64 v[6:7], v[6:7], v[13:14]
	v_add_f64 v[13:14], v[23:24], v[6:7]
	v_add_f64 v[17:18], v[13:14], -v[23:24]
	v_mul_f64 v[19:20], v[15:16], v[13:14]
	v_add_f64 v[6:7], v[6:7], -v[17:18]
	v_fma_f64 v[13:14], v[15:16], v[13:14], -v[19:20]
	v_cmp_class_f64_e64 vcc, v[19:20], s33
	v_fma_f64 v[6:7], v[15:16], v[6:7], v[13:14]
	v_add_f64 v[13:14], v[19:20], v[6:7]
	v_cndmask_b32_e32 v18, v14, v20, vcc
	v_cndmask_b32_e32 v17, v13, v19, vcc
	v_mul_f64 v[21:22], v[17:18], s[42:43]
	v_add_f64 v[13:14], v[13:14], -v[19:20]
	v_cmp_neq_f64_e64 vcc, |v[17:18]|, s[52:53]
	v_cmp_nlt_f64_e64 s[2:3], s[54:55], v[17:18]
	v_cmp_ngt_f64_e64 s[4:5], s[56:57], v[17:18]
	v_trunc_f64_e32 v[19:20], v[15:16]
	v_rndne_f64_e32 v[21:22], v[21:22]
	v_add_f64 v[6:7], v[6:7], -v[13:14]
	v_cmp_eq_f64_e64 s[6:7], v[19:20], v[15:16]
	v_fma_f64 v[23:24], v[21:22], s[46:47], v[17:18]
	v_cndmask_b32_e32 v7, 0, v7, vcc
	v_cndmask_b32_e32 v6, 0, v6, vcc
	s_and_b64 vcc, s[4:5], s[2:3]
	v_fma_f64 v[23:24], v[21:22], s[48:49], v[23:24]
	v_fma_f64 v[8:9], v[23:24], s[50:51], v[9:10]
	v_cvt_i32_f64_e32 v10, v[21:22]
	v_fma_f64 v[8:9], v[23:24], v[8:9], s[58:59]
	v_fma_f64 v[8:9], v[23:24], v[8:9], s[60:61]
	;; [unrolled: 1-line block ×8, first 2 shown]
	v_fma_f64 v[8:9], v[23:24], v[8:9], 1.0
	v_fma_f64 v[8:9], v[23:24], v[8:9], 1.0
	v_mul_f64 v[23:24], v[15:16], 0.5
	v_ldexp_f64 v[8:9], v[8:9], v10
	v_trunc_f64_e32 v[21:22], v[23:24]
	v_cndmask_b32_e64 v9, v12, v9, s[2:3]
	v_cmp_neq_f64_e64 s[8:9], v[21:22], v[23:24]
	v_cndmask_b32_e64 v9, 0, v9, s[4:5]
	v_cndmask_b32_e32 v8, 0, v8, vcc
	v_fma_f64 v[6:7], v[8:9], v[6:7], v[8:9]
	v_cmp_class_f64_e64 vcc, v[8:9], s33
	v_cmp_eq_f64_e64 s[2:3], 0, v[4:5]
	s_and_b64 s[4:5], s[6:7], s[8:9]
	v_cndmask_b32_e64 v11, v11, v5, s[4:5]
	v_cndmask_b32_e32 v7, v7, v9, vcc
	v_cndmask_b32_e64 v10, v12, 0, s[2:3]
	v_cndmask_b32_e64 v12, 0, v5, s[4:5]
	v_bfi_b32 v10, s24, v10, v12
	v_cndmask_b32_e32 v6, v6, v8, vcc
	v_bfi_b32 v7, s24, v7, v11
	s_or_b64 vcc, s[2:3], s[22:23]
	v_cndmask_b32_e64 v6, v6, 0, vcc
	v_cndmask_b32_e32 v7, v7, v10, vcc
	v_div_scale_f64 v[8:9], s[2:3], v[6:7], v[6:7], s[20:21]
	s_mov_b32 s2, 0x9999999a
	s_mov_b32 s3, 0x3fb99999
	v_rcp_f64_e32 v[10:11], v[8:9]
	v_fma_f64 v[12:13], -v[8:9], v[10:11], 1.0
	v_fma_f64 v[10:11], v[10:11], v[12:13], v[10:11]
	v_div_scale_f64 v[12:13], vcc, s[20:21], v[6:7], s[20:21]
	v_fma_f64 v[14:15], -v[8:9], v[10:11], 1.0
	v_fma_f64 v[10:11], v[10:11], v[14:15], v[10:11]
	v_mul_f64 v[14:15], v[12:13], v[10:11]
	v_fma_f64 v[8:9], -v[8:9], v[14:15], v[12:13]
	v_div_fmas_f64 v[8:9], v[8:9], v[10:11], v[14:15]
	v_cmp_o_f64_e32 vcc, v[4:5], v[4:5]
	v_div_fixup_f64 v[6:7], v[8:9], v[6:7], s[20:21]
	v_mov_b32_e32 v8, 0x7ff80000
	v_add_f64 v[6:7], v[6:7], s[2:3]
	v_cndmask_b32_e32 v5, v8, v7, vcc
	v_cndmask_b32_e32 v4, 0, v6, vcc
.LBB0_3:
	s_or_b64 exec, exec, s[14:15]
	s_mov_b32 s2, 0x9999999a
	s_mov_b32 s3, 0xbfb99999
	v_add_f64 v[6:7], v[4:5], s[2:3]
	s_mov_b32 s15, 0x3fd66666
	s_mov_b32 s14, 0x66666666
	;; [unrolled: 1-line block ×7, first 2 shown]
	v_div_scale_f64 v[8:9], s[2:3], s[14:15], s[14:15], v[6:7]
	s_mov_b32 s23, 0x3fbdee67
	s_mov_b32 s24, 0x3abe935a
	;; [unrolled: 1-line block ×14, first 2 shown]
	v_rcp_f64_e32 v[10:11], v[8:9]
	s_mov_b32 s39, 0x3fd99999
	s_mov_b32 s41, 0xbfe55555
	;; [unrolled: 1-line block ×9, first 2 shown]
	v_mov_b32_e32 v30, 0x3ff00000
	s_movk_i32 s33, 0x204
	s_mov_b32 s48, 0x652b82fe
	s_mov_b32 s49, 0x3ff71547
	;; [unrolled: 1-line block ×4, first 2 shown]
	v_fma_f64 v[12:13], -v[8:9], v[10:11], 1.0
	s_mov_b32 s55, 0xbc7abc9e
	s_mov_b32 s54, s46
	;; [unrolled: 1-line block ×7, first 2 shown]
	v_fma_f64 v[10:11], v[10:11], v[12:13], v[10:11]
	v_div_scale_f64 v[12:13], vcc, v[6:7], s[14:15], v[6:7]
	s_mov_b32 s63, 0x3ec71dee
	s_mov_b32 s64, 0x7c89e6b0
	;; [unrolled: 1-line block ×5, first 2 shown]
	v_fma_f64 v[14:15], -v[8:9], v[10:11], 1.0
	s_mov_b32 s68, 0x1852b7b0
	s_mov_b32 s69, 0x3f56c16c
	;; [unrolled: 1-line block ×7, first 2 shown]
	v_fma_f64 v[10:11], v[10:11], v[14:15], v[10:11]
	s_mov_b32 s75, 0x3fc55555
	s_mov_b32 s76, 11
	s_mov_b32 s77, 0x3fe00000
	s_mov_b32 s58, 0
	s_mov_b32 s60, 0
	s_mov_b32 s52, 0
	s_mov_b32 s59, 0x40900000
	v_mul_f64 v[14:15], v[12:13], v[10:11]
	s_mov_b32 s61, 0xc090cc00
	s_mov_b32 s53, 0x7ff00000
	v_mov_b32_e32 v31, 0x7ff00000
	s_brev_b32 s82, -2
	v_mov_b32_e32 v32, 0x7ff80000
	v_fma_f64 v[8:9], -v[8:9], v[14:15], v[12:13]
	v_div_fmas_f64 v[8:9], v[8:9], v[10:11], v[14:15]
	v_div_fixup_f64 v[6:7], v[8:9], s[14:15], v[6:7]
	v_frexp_mant_f64_e64 v[8:9], |v[6:7]|
	v_cmp_class_f64_e64 s[6:7], v[6:7], s33
	v_cmp_gt_f64_e32 vcc, s[20:21], v[8:9]
	v_cndmask_b32_e64 v10, 0, 1, vcc
	v_ldexp_f64 v[8:9], v[8:9], v10
	v_add_f64 v[10:11], v[8:9], 1.0
	v_add_f64 v[16:17], v[8:9], -1.0
	v_rcp_f64_e32 v[12:13], v[10:11]
	v_add_f64 v[18:19], v[10:11], -1.0
	v_add_f64 v[8:9], v[8:9], -v[18:19]
	v_fma_f64 v[14:15], -v[10:11], v[12:13], 1.0
	v_fma_f64 v[12:13], v[14:15], v[12:13], v[12:13]
	v_fma_f64 v[14:15], -v[10:11], v[12:13], 1.0
	v_fma_f64 v[12:13], v[14:15], v[12:13], v[12:13]
	v_mul_f64 v[14:15], v[16:17], v[12:13]
	v_mul_f64 v[20:21], v[10:11], v[14:15]
	v_fma_f64 v[10:11], v[14:15], v[10:11], -v[20:21]
	v_fma_f64 v[8:9], v[14:15], v[8:9], v[10:11]
	v_add_f64 v[10:11], v[20:21], v[8:9]
	v_add_f64 v[18:19], v[16:17], -v[10:11]
	v_add_f64 v[20:21], v[10:11], -v[20:21]
	;; [unrolled: 1-line block ×5, first 2 shown]
	v_add_f64 v[8:9], v[8:9], v[10:11]
	v_add_f64 v[8:9], v[18:19], v[8:9]
	v_mul_f64 v[8:9], v[12:13], v[8:9]
	v_add_f64 v[12:13], v[14:15], v[8:9]
	v_add_f64 v[10:11], v[12:13], -v[14:15]
	v_mul_f64 v[14:15], v[12:13], v[12:13]
	v_add_f64 v[10:11], v[8:9], -v[10:11]
	v_fma_f64 v[8:9], v[12:13], v[12:13], -v[14:15]
	v_add_f64 v[16:17], v[10:11], v[10:11]
	v_fma_f64 v[16:17], v[12:13], v[16:17], v[8:9]
	v_mov_b32_e32 v8, s78
	v_mov_b32_e32 v9, s79
	v_add_f64 v[18:19], v[14:15], v[16:17]
	v_fma_f64 v[20:21], v[18:19], s[22:23], v[8:9]
	v_add_f64 v[14:15], v[18:19], -v[14:15]
	v_mul_f64 v[26:27], v[12:13], v[18:19]
	v_fma_f64 v[20:21], v[18:19], v[20:21], s[24:25]
	v_add_f64 v[14:15], v[16:17], -v[14:15]
	v_fma_f64 v[20:21], v[18:19], v[20:21], s[26:27]
	v_fma_f64 v[20:21], v[18:19], v[20:21], s[28:29]
	;; [unrolled: 1-line block ×6, first 2 shown]
	v_mul_f64 v[22:23], v[18:19], v[20:21]
	v_fma_f64 v[16:17], v[18:19], v[20:21], -v[22:23]
	v_fma_f64 v[16:17], v[14:15], v[20:21], v[16:17]
	v_add_f64 v[20:21], v[22:23], v[16:17]
	v_add_f64 v[24:25], v[20:21], s[20:21]
	v_add_f64 v[22:23], v[20:21], -v[22:23]
	v_add_f64 v[28:29], v[24:25], s[40:41]
	v_add_f64 v[16:17], v[16:17], -v[22:23]
	v_fma_f64 v[22:23], v[18:19], v[12:13], -v[26:27]
	v_add_f64 v[20:21], v[20:21], -v[28:29]
	v_add_f64 v[16:17], v[16:17], s[42:43]
	v_fma_f64 v[18:19], v[18:19], v[10:11], v[22:23]
	v_ldexp_f64 v[10:11], v[10:11], 1
	v_add_f64 v[16:17], v[16:17], v[20:21]
	v_fma_f64 v[14:15], v[14:15], v[12:13], v[18:19]
	v_ldexp_f64 v[12:13], v[12:13], 1
	v_add_f64 v[18:19], v[24:25], v[16:17]
	v_add_f64 v[20:21], v[26:27], v[14:15]
	v_add_f64 v[22:23], v[24:25], -v[18:19]
	v_mul_f64 v[24:25], v[20:21], v[18:19]
	v_add_f64 v[26:27], v[20:21], -v[26:27]
	v_add_f64 v[16:17], v[16:17], v[22:23]
	v_fma_f64 v[22:23], v[20:21], v[18:19], -v[24:25]
	v_add_f64 v[14:15], v[14:15], -v[26:27]
	v_fma_f64 v[16:17], v[20:21], v[16:17], v[22:23]
	v_fma_f64 v[14:15], v[14:15], v[18:19], v[16:17]
	v_frexp_exp_i32_f64_e32 v18, v[6:7]
	v_add_f64 v[16:17], v[24:25], v[14:15]
	v_subbrev_co_u32_e32 v22, vcc, 0, v18, vcc
	v_cvt_f64_i32_e32 v[22:23], v22
	v_cmp_eq_f64_e32 vcc, 1.0, v[6:7]
	v_add_f64 v[18:19], v[12:13], v[16:17]
	v_add_f64 v[20:21], v[16:17], -v[24:25]
	v_mul_f64 v[24:25], v[22:23], s[44:45]
	v_add_f64 v[12:13], v[18:19], -v[12:13]
	v_add_f64 v[14:15], v[14:15], -v[20:21]
	v_fma_f64 v[20:21], v[22:23], s[44:45], -v[24:25]
	v_add_f64 v[12:13], v[16:17], -v[12:13]
	v_add_f64 v[10:11], v[10:11], v[14:15]
	v_fma_f64 v[14:15], v[22:23], s[46:47], v[20:21]
	v_add_f64 v[10:11], v[10:11], v[12:13]
	v_add_f64 v[12:13], v[24:25], v[14:15]
	;; [unrolled: 1-line block ×3, first 2 shown]
	v_add_f64 v[24:25], v[12:13], -v[24:25]
	v_add_f64 v[20:21], v[12:13], v[16:17]
	v_add_f64 v[18:19], v[16:17], -v[18:19]
	v_add_f64 v[14:15], v[14:15], -v[24:25]
	;; [unrolled: 1-line block ×6, first 2 shown]
	v_add_f64 v[18:19], v[14:15], v[10:11]
	v_add_f64 v[12:13], v[12:13], -v[26:27]
	v_add_f64 v[12:13], v[16:17], v[12:13]
	v_add_f64 v[16:17], v[18:19], -v[14:15]
	;; [unrolled: 2-line block ×3, first 2 shown]
	v_add_f64 v[10:11], v[10:11], -v[16:17]
	v_add_f64 v[22:23], v[20:21], v[12:13]
	v_add_f64 v[14:15], v[14:15], -v[18:19]
	v_add_f64 v[16:17], v[22:23], -v[20:21]
	v_add_f64 v[10:11], v[10:11], v[14:15]
	v_add_f64 v[12:13], v[12:13], -v[16:17]
	v_add_f64 v[10:11], v[10:11], v[12:13]
	v_mov_b32_e32 v13, 0x40020000
	v_mov_b32_e32 v12, 0
	v_cndmask_b32_e32 v13, v13, v30, vcc
	v_add_f64 v[14:15], v[22:23], v[10:11]
	v_add_f64 v[16:17], v[14:15], -v[22:23]
	v_mul_f64 v[18:19], v[12:13], v[14:15]
	v_add_f64 v[10:11], v[10:11], -v[16:17]
	v_fma_f64 v[14:15], v[12:13], v[14:15], -v[18:19]
	v_cmp_class_f64_e64 vcc, v[18:19], s33
	v_fma_f64 v[20:21], v[12:13], v[10:11], v[14:15]
	v_add_f64 v[14:15], v[18:19], v[20:21]
	v_cndmask_b32_e32 v23, v15, v19, vcc
	v_cndmask_b32_e32 v22, v14, v18, vcc
	v_mul_f64 v[10:11], v[22:23], s[48:49]
	v_add_f64 v[18:19], v[14:15], -v[18:19]
	v_mul_f64 v[14:15], v[12:13], 0.5
	v_cmp_nlt_f64_e32 vcc, s[58:59], v[22:23]
	v_cmp_ngt_f64_e64 s[4:5], s[60:61], v[22:23]
	v_cmp_neq_f64_e64 s[2:3], |v[22:23]|, s[52:53]
	v_rndne_f64_e32 v[16:17], v[10:11]
	v_add_f64 v[18:19], v[20:21], -v[18:19]
	v_trunc_f64_e32 v[20:21], v[14:15]
	v_fma_f64 v[10:11], v[16:17], s[50:51], v[22:23]
	v_trunc_f64_e32 v[22:23], v[12:13]
	v_cndmask_b32_e64 v19, 0, v19, s[2:3]
	v_cndmask_b32_e64 v18, 0, v18, s[2:3]
	v_fma_f64 v[24:25], v[16:17], s[54:55], v[10:11]
	v_mov_b32_e32 v10, s80
	v_mov_b32_e32 v11, s81
	v_cvt_i32_f64_e32 v16, v[16:17]
	v_fma_f64 v[26:27], v[24:25], s[56:57], v[10:11]
	v_fma_f64 v[26:27], v[24:25], v[26:27], s[62:63]
	;; [unrolled: 1-line block ×9, first 2 shown]
	v_fma_f64 v[26:27], v[24:25], v[26:27], 1.0
	v_fma_f64 v[24:25], v[24:25], v[26:27], 1.0
	v_ldexp_f64 v[16:17], v[24:25], v16
	v_cndmask_b32_e32 v17, v31, v17, vcc
	s_and_b64 vcc, s[4:5], vcc
	v_cndmask_b32_e64 v17, 0, v17, s[4:5]
	v_cndmask_b32_e32 v16, 0, v16, vcc
	v_cmp_neq_f64_e32 vcc, v[20:21], v[14:15]
	v_cmp_eq_f64_e64 s[4:5], v[22:23], v[12:13]
	v_fma_f64 v[18:19], v[16:17], v[18:19], v[16:17]
	v_cmp_class_f64_e64 s[2:3], v[16:17], s33
	s_and_b64 vcc, s[4:5], vcc
	v_cndmask_b32_e32 v15, v30, v7, vcc
	v_cndmask_b32_e64 v12, v19, v17, s[2:3]
	v_cndmask_b32_e64 v14, v18, v16, s[2:3]
	v_bfi_b32 v12, s82, v12, v15
	v_cndmask_b32_e64 v13, 0, v14, s[4:5]
	v_cndmask_b32_e64 v15, v32, v12, s[4:5]
	v_cmp_eq_f64_e64 s[4:5], 0, v[6:7]
	v_cmp_gt_f64_e64 s[2:3], 0, v[6:7]
	v_cndmask_b32_e32 v17, 0, v7, vcc
	v_cndmask_b32_e64 v16, v31, 0, s[4:5]
	v_bfi_b32 v16, s82, v16, v17
	v_cndmask_b32_e64 v15, v12, v15, s[2:3]
	v_cndmask_b32_e64 v12, v14, v13, s[2:3]
	s_or_b64 vcc, s[4:5], s[6:7]
	v_cndmask_b32_e64 v12, v12, 0, vcc
	v_cndmask_b32_e32 v13, v15, v16, vcc
	v_add_f64 v[12:13], -v[12:13], 1.0
	v_cmp_o_f64_e32 vcc, v[6:7], v[6:7]
	s_mov_b32 s2, 0
	s_brev_b32 s3, 8
	v_cndmask_b32_e32 v13, v32, v13, vcc
	v_cndmask_b32_e32 v12, 0, v12, vcc
	v_frexp_mant_f64_e64 v[14:15], |v[12:13]|
	v_cmp_eq_f64_e64 s[8:9], 0, v[12:13]
	v_cmp_gt_f64_e32 vcc, s[20:21], v[14:15]
	v_cndmask_b32_e64 v16, 0, 1, vcc
	v_ldexp_f64 v[14:15], v[14:15], v16
	v_add_f64 v[16:17], v[14:15], 1.0
	v_add_f64 v[22:23], v[14:15], -1.0
	v_rcp_f64_e32 v[18:19], v[16:17]
	v_add_f64 v[24:25], v[16:17], -1.0
	v_add_f64 v[14:15], v[14:15], -v[24:25]
	v_fma_f64 v[20:21], -v[16:17], v[18:19], 1.0
	v_fma_f64 v[18:19], v[20:21], v[18:19], v[18:19]
	v_fma_f64 v[20:21], -v[16:17], v[18:19], 1.0
	v_fma_f64 v[18:19], v[20:21], v[18:19], v[18:19]
	v_mul_f64 v[20:21], v[22:23], v[18:19]
	v_mul_f64 v[26:27], v[16:17], v[20:21]
	v_fma_f64 v[16:17], v[20:21], v[16:17], -v[26:27]
	v_fma_f64 v[14:15], v[20:21], v[14:15], v[16:17]
	v_add_f64 v[16:17], v[26:27], v[14:15]
	v_add_f64 v[24:25], v[22:23], -v[16:17]
	v_add_f64 v[26:27], v[16:17], -v[26:27]
	;; [unrolled: 1-line block ×5, first 2 shown]
	v_add_f64 v[14:15], v[14:15], v[16:17]
	v_add_f64 v[14:15], v[24:25], v[14:15]
	v_mul_f64 v[14:15], v[18:19], v[14:15]
	v_add_f64 v[16:17], v[20:21], v[14:15]
	v_add_f64 v[18:19], v[16:17], -v[20:21]
	v_mul_f64 v[20:21], v[16:17], v[16:17]
	v_add_f64 v[14:15], v[14:15], -v[18:19]
	v_fma_f64 v[18:19], v[16:17], v[16:17], -v[20:21]
	v_add_f64 v[22:23], v[14:15], v[14:15]
	v_fma_f64 v[18:19], v[16:17], v[22:23], v[18:19]
	v_add_f64 v[22:23], v[20:21], v[18:19]
	v_fma_f64 v[8:9], v[22:23], s[22:23], v[8:9]
	v_add_f64 v[20:21], v[22:23], -v[20:21]
	v_mul_f64 v[28:29], v[16:17], v[22:23]
	v_fma_f64 v[8:9], v[22:23], v[8:9], s[24:25]
	v_add_f64 v[18:19], v[18:19], -v[20:21]
	v_fma_f64 v[8:9], v[22:23], v[8:9], s[26:27]
	v_fma_f64 v[8:9], v[22:23], v[8:9], s[28:29]
	;; [unrolled: 1-line block ×6, first 2 shown]
	v_mul_f64 v[24:25], v[22:23], v[8:9]
	v_fma_f64 v[20:21], v[22:23], v[8:9], -v[24:25]
	v_fma_f64 v[8:9], v[18:19], v[8:9], v[20:21]
	v_add_f64 v[20:21], v[24:25], v[8:9]
	v_add_f64 v[24:25], v[20:21], -v[24:25]
	v_add_f64 v[26:27], v[20:21], s[20:21]
	v_add_f64 v[8:9], v[8:9], -v[24:25]
	v_add_f64 v[24:25], v[26:27], s[40:41]
	v_add_f64 v[8:9], v[8:9], s[42:43]
	v_add_f64 v[20:21], v[20:21], -v[24:25]
	v_fma_f64 v[24:25], v[22:23], v[16:17], -v[28:29]
	v_add_f64 v[8:9], v[8:9], v[20:21]
	v_fma_f64 v[22:23], v[22:23], v[14:15], v[24:25]
	v_ldexp_f64 v[14:15], v[14:15], 1
	v_add_f64 v[20:21], v[26:27], v[8:9]
	v_fma_f64 v[18:19], v[18:19], v[16:17], v[22:23]
	v_ldexp_f64 v[16:17], v[16:17], 1
	v_add_f64 v[24:25], v[26:27], -v[20:21]
	v_add_f64 v[22:23], v[28:29], v[18:19]
	v_add_f64 v[8:9], v[8:9], v[24:25]
	v_mul_f64 v[26:27], v[22:23], v[20:21]
	v_add_f64 v[28:29], v[22:23], -v[28:29]
	v_fma_f64 v[24:25], v[22:23], v[20:21], -v[26:27]
	v_add_f64 v[18:19], v[18:19], -v[28:29]
	v_fma_f64 v[8:9], v[22:23], v[8:9], v[24:25]
	v_fma_f64 v[8:9], v[18:19], v[20:21], v[8:9]
	v_frexp_exp_i32_f64_e32 v20, v[12:13]
	v_add_f64 v[18:19], v[26:27], v[8:9]
	v_subbrev_co_u32_e32 v24, vcc, 0, v20, vcc
	v_cvt_f64_i32_e32 v[24:25], v24
	v_cmp_eq_f64_e32 vcc, 1.0, v[12:13]
	v_add_f64 v[20:21], v[16:17], v[18:19]
	v_add_f64 v[22:23], v[18:19], -v[26:27]
	v_mul_f64 v[26:27], v[24:25], s[44:45]
	v_add_f64 v[16:17], v[20:21], -v[16:17]
	v_add_f64 v[8:9], v[8:9], -v[22:23]
	v_fma_f64 v[22:23], v[24:25], s[44:45], -v[26:27]
	v_add_f64 v[16:17], v[18:19], -v[16:17]
	v_add_f64 v[8:9], v[14:15], v[8:9]
	v_fma_f64 v[14:15], v[24:25], s[46:47], v[22:23]
	v_add_f64 v[8:9], v[8:9], v[16:17]
	v_add_f64 v[16:17], v[26:27], v[14:15]
	;; [unrolled: 1-line block ×3, first 2 shown]
	v_add_f64 v[26:27], v[16:17], -v[26:27]
	v_add_f64 v[22:23], v[16:17], v[18:19]
	v_add_f64 v[20:21], v[18:19], -v[20:21]
	v_add_f64 v[14:15], v[14:15], -v[26:27]
	;; [unrolled: 1-line block ×6, first 2 shown]
	v_add_f64 v[20:21], v[14:15], v[8:9]
	v_add_f64 v[16:17], v[16:17], -v[28:29]
	v_add_f64 v[16:17], v[18:19], v[16:17]
	v_add_f64 v[18:19], v[20:21], -v[14:15]
	;; [unrolled: 2-line block ×3, first 2 shown]
	v_add_f64 v[8:9], v[8:9], -v[18:19]
	v_add_f64 v[24:25], v[22:23], v[16:17]
	v_add_f64 v[14:15], v[14:15], -v[20:21]
	v_add_f64 v[18:19], v[24:25], -v[22:23]
	v_add_f64 v[8:9], v[8:9], v[14:15]
	v_mov_b32_e32 v22, 0x100
	v_add_f64 v[14:15], v[16:17], -v[18:19]
	v_add_f64 v[16:17], v[8:9], v[14:15]
	v_mov_b32_e32 v8, 0x3fdc71c7
	v_mov_b32_e32 v14, 0x1c71c71d
	v_cndmask_b32_e32 v9, v8, v30, vcc
	v_cndmask_b32_e64 v8, v14, 0, vcc
	v_cmp_gt_f64_e32 vcc, s[2:3], v[6:7]
	v_add_f64 v[18:19], v[24:25], v[16:17]
	v_cndmask_b32_e32 v22, 0, v22, vcc
	v_ldexp_f64 v[6:7], v[6:7], v22
	v_add_f64 v[20:21], v[18:19], -v[24:25]
	v_mul_f64 v[14:15], v[8:9], v[18:19]
	v_add_f64 v[16:17], v[16:17], -v[20:21]
	v_fma_f64 v[18:19], v[8:9], v[18:19], -v[14:15]
	v_rsq_f64_e32 v[20:21], v[6:7]
	v_cmp_class_f64_e64 s[2:3], v[14:15], s33
	v_fma_f64 v[18:19], v[8:9], v[16:17], v[18:19]
	v_add_f64 v[22:23], v[14:15], v[18:19]
	v_mul_f64 v[16:17], v[6:7], v[20:21]
	v_mul_f64 v[28:29], v[20:21], 0.5
	v_cndmask_b32_e64 v21, v23, v15, s[2:3]
	v_cndmask_b32_e64 v20, v22, v14, s[2:3]
	v_mul_f64 v[24:25], v[20:21], s[48:49]
	v_fma_f64 v[33:34], -v[28:29], v[16:17], 0.5
	v_add_f64 v[14:15], v[22:23], -v[14:15]
	v_cmp_nlt_f64_e64 s[4:5], s[58:59], v[20:21]
	v_cmp_ngt_f64_e64 s[6:7], s[60:61], v[20:21]
	v_rndne_f64_e32 v[26:27], v[24:25]
	v_fma_f64 v[24:25], v[16:17], v[33:34], v[16:17]
	v_fma_f64 v[16:17], v[28:29], v[33:34], v[28:29]
	v_mov_b32_e32 v33, s13
	v_add_f64 v[14:15], v[18:19], -v[14:15]
	v_fma_f64 v[28:29], v[26:27], s[50:51], v[20:21]
	v_fma_f64 v[28:29], v[26:27], s[54:55], v[28:29]
	;; [unrolled: 1-line block ×11, first 2 shown]
	v_fma_f64 v[10:11], v[28:29], v[10:11], 1.0
	v_fma_f64 v[10:11], v[28:29], v[10:11], 1.0
	v_add_co_u32_e64 v28, s[2:3], s12, v0
	v_addc_co_u32_e64 v29, s[2:3], v33, v1, s[2:3]
	global_load_dwordx2 v[28:29], v[28:29], off
	v_cvt_i32_f64_e32 v33, v[26:27]
	v_fma_f64 v[26:27], -v[24:25], v[24:25], v[6:7]
	v_cmp_neq_f64_e64 s[2:3], |v[20:21]|, s[52:53]
	v_ldexp_f64 v[10:11], v[10:11], v33
	v_fma_f64 v[22:23], v[26:27], v[16:17], v[24:25]
	v_mul_f64 v[24:25], v[8:9], 0.5
	v_trunc_f64_e32 v[26:27], v[8:9]
	v_cndmask_b32_e64 v11, v31, v11, s[4:5]
	v_cndmask_b32_e64 v15, 0, v15, s[2:3]
	;; [unrolled: 1-line block ×3, first 2 shown]
	s_and_b64 s[2:3], s[6:7], s[4:5]
	v_cndmask_b32_e64 v11, 0, v11, s[6:7]
	v_fma_f64 v[18:19], -v[22:23], v[22:23], v[6:7]
	v_trunc_f64_e32 v[20:21], v[24:25]
	v_cndmask_b32_e64 v10, 0, v10, s[2:3]
	v_cmp_eq_f64_e64 s[6:7], v[26:27], v[8:9]
	v_fma_f64 v[14:15], v[10:11], v[14:15], v[10:11]
	v_cmp_class_f64_e64 s[4:5], v[10:11], s33
	v_fma_f64 v[16:17], v[18:19], v[16:17], v[22:23]
	v_cmp_neq_f64_e64 s[2:3], v[20:21], v[24:25]
	v_mov_b32_e32 v18, 0xffffff80
	v_cndmask_b32_e32 v8, 0, v18, vcc
	v_cndmask_b32_e64 v10, v14, v10, s[4:5]
	v_mov_b32_e32 v14, 0x260
	v_cndmask_b32_e64 v11, v15, v11, s[4:5]
	v_ldexp_f64 v[8:9], v[16:17], v8
	s_and_b64 s[2:3], s[6:7], s[2:3]
	v_cndmask_b32_e64 v15, v30, v13, s[2:3]
	v_cmp_class_f64_e32 vcc, v[6:7], v14
	v_bfi_b32 v11, s82, v11, v15
	v_cndmask_b32_e64 v14, 0, v10, s[6:7]
	v_cndmask_b32_e64 v15, v32, v11, s[6:7]
	v_cmp_gt_f64_e64 s[4:5], 0, v[12:13]
	v_cmp_class_f64_e64 s[6:7], v[12:13], s33
	v_cndmask_b32_e32 v7, v9, v7, vcc
	v_cndmask_b32_e32 v6, v8, v6, vcc
	v_cndmask_b32_e64 v8, v31, 0, s[8:9]
	v_cndmask_b32_e64 v9, 0, v13, s[2:3]
	v_bfi_b32 v9, s82, v8, v9
	v_cndmask_b32_e64 v11, v11, v15, s[4:5]
	v_cndmask_b32_e64 v8, v10, v14, s[4:5]
	s_or_b64 vcc, s[8:9], s[6:7]
	v_cndmask_b32_e64 v8, v8, 0, vcc
	v_cndmask_b32_e32 v9, v11, v9, vcc
	v_add_f64 v[8:9], -v[8:9], 1.0
	v_cmp_o_f64_e32 vcc, v[12:13], v[12:13]
	v_mov_b32_e32 v11, s19
	v_cndmask_b32_e32 v9, v32, v9, vcc
	v_cndmask_b32_e32 v8, 0, v8, vcc
	v_add_co_u32_e32 v10, vcc, s18, v0
	v_addc_co_u32_e32 v11, vcc, v11, v1, vcc
	global_store_dwordx2 v[10:11], v[4:5], off
	v_mov_b32_e32 v4, 0
	v_mov_b32_e32 v5, 0
	s_waitcnt vmcnt(1)
	v_mul_f64 v[6:7], v[28:29], v[6:7]
	v_mul_f64 v[6:7], v[6:7], v[8:9]
	;; [unrolled: 1-line block ×3, first 2 shown]
	s_waitcnt lgkmcnt(0)
	v_mov_b32_e32 v9, s11
	v_add_co_u32_e32 v8, vcc, s10, v0
	v_addc_co_u32_e32 v9, vcc, v9, v1, vcc
	global_store_dwordx2 v[8:9], v[6:7], off
	s_and_saveexec_b64 s[12:13], s[0:1]
	s_cbranch_execz .LBB0_5
; %bb.4:
	s_mov_b32 s0, 0x47ae147b
	s_mov_b32 s1, 0x3f947ae1
	v_mul_f64 v[6:7], |v[2:3]|, s[0:1]
	v_mov_b32_e32 v26, 0x3ffccccc
	v_mov_b32_e32 v28, 0xcccccccd
	s_mov_b32 s15, 0xbfd66666
	v_frexp_mant_f64_e32 v[2:3], v[6:7]
	v_cmp_gt_f64_e32 vcc, s[20:21], v[2:3]
	v_cndmask_b32_e64 v4, 0, 1, vcc
	v_ldexp_f64 v[2:3], v[2:3], v4
	v_add_f64 v[4:5], v[2:3], 1.0
	v_add_f64 v[12:13], v[2:3], -1.0
	v_rcp_f64_e32 v[8:9], v[4:5]
	v_add_f64 v[14:15], v[4:5], -1.0
	v_add_f64 v[2:3], v[2:3], -v[14:15]
	v_fma_f64 v[10:11], -v[4:5], v[8:9], 1.0
	v_fma_f64 v[8:9], v[10:11], v[8:9], v[8:9]
	v_fma_f64 v[10:11], -v[4:5], v[8:9], 1.0
	v_fma_f64 v[8:9], v[10:11], v[8:9], v[8:9]
	v_mul_f64 v[10:11], v[12:13], v[8:9]
	v_mul_f64 v[16:17], v[4:5], v[10:11]
	v_fma_f64 v[4:5], v[10:11], v[4:5], -v[16:17]
	v_fma_f64 v[2:3], v[10:11], v[2:3], v[4:5]
	v_add_f64 v[4:5], v[16:17], v[2:3]
	v_add_f64 v[14:15], v[12:13], -v[4:5]
	v_add_f64 v[16:17], v[4:5], -v[16:17]
	;; [unrolled: 1-line block ×5, first 2 shown]
	v_add_f64 v[2:3], v[2:3], v[4:5]
	v_add_f64 v[2:3], v[14:15], v[2:3]
	v_mul_f64 v[2:3], v[8:9], v[2:3]
	v_add_f64 v[4:5], v[10:11], v[2:3]
	v_add_f64 v[8:9], v[4:5], -v[10:11]
	v_mul_f64 v[10:11], v[4:5], v[4:5]
	v_add_f64 v[8:9], v[2:3], -v[8:9]
	v_fma_f64 v[2:3], v[4:5], v[4:5], -v[10:11]
	v_add_f64 v[12:13], v[8:9], v[8:9]
	v_fma_f64 v[12:13], v[4:5], v[12:13], v[2:3]
	v_mov_b32_e32 v2, s78
	v_mov_b32_e32 v3, s79
	v_add_f64 v[14:15], v[10:11], v[12:13]
	v_fma_f64 v[16:17], v[14:15], s[22:23], v[2:3]
	v_add_f64 v[10:11], v[14:15], -v[10:11]
	v_mul_f64 v[22:23], v[4:5], v[14:15]
	v_fma_f64 v[16:17], v[14:15], v[16:17], s[24:25]
	v_add_f64 v[10:11], v[12:13], -v[10:11]
	v_fma_f64 v[16:17], v[14:15], v[16:17], s[26:27]
	v_fma_f64 v[16:17], v[14:15], v[16:17], s[28:29]
	;; [unrolled: 1-line block ×6, first 2 shown]
	v_mul_f64 v[18:19], v[14:15], v[16:17]
	v_fma_f64 v[12:13], v[14:15], v[16:17], -v[18:19]
	v_fma_f64 v[12:13], v[10:11], v[16:17], v[12:13]
	v_add_f64 v[16:17], v[18:19], v[12:13]
	v_add_f64 v[20:21], v[16:17], s[20:21]
	v_add_f64 v[18:19], v[16:17], -v[18:19]
	v_add_f64 v[24:25], v[20:21], s[40:41]
	v_add_f64 v[12:13], v[12:13], -v[18:19]
	v_fma_f64 v[18:19], v[14:15], v[4:5], -v[22:23]
	v_add_f64 v[16:17], v[16:17], -v[24:25]
	v_add_f64 v[12:13], v[12:13], s[42:43]
	v_fma_f64 v[14:15], v[14:15], v[8:9], v[18:19]
	v_ldexp_f64 v[8:9], v[8:9], 1
	v_add_f64 v[12:13], v[12:13], v[16:17]
	v_fma_f64 v[10:11], v[10:11], v[4:5], v[14:15]
	v_ldexp_f64 v[4:5], v[4:5], 1
	v_add_f64 v[14:15], v[20:21], v[12:13]
	v_add_f64 v[16:17], v[22:23], v[10:11]
	v_add_f64 v[18:19], v[20:21], -v[14:15]
	v_mul_f64 v[20:21], v[16:17], v[14:15]
	v_add_f64 v[22:23], v[16:17], -v[22:23]
	v_add_f64 v[12:13], v[12:13], v[18:19]
	v_fma_f64 v[18:19], v[16:17], v[14:15], -v[20:21]
	v_add_f64 v[10:11], v[10:11], -v[22:23]
	v_fma_f64 v[12:13], v[16:17], v[12:13], v[18:19]
	v_fma_f64 v[10:11], v[10:11], v[14:15], v[12:13]
	v_frexp_exp_i32_f64_e32 v14, v[6:7]
	v_add_f64 v[12:13], v[20:21], v[10:11]
	v_subbrev_co_u32_e32 v18, vcc, 0, v14, vcc
	v_cvt_f64_i32_e32 v[18:19], v18
	v_cmp_eq_f64_e32 vcc, 1.0, v[6:7]
	v_add_f64 v[14:15], v[4:5], v[12:13]
	v_add_f64 v[16:17], v[12:13], -v[20:21]
	v_mul_f64 v[20:21], v[18:19], s[44:45]
	v_cndmask_b32_e32 v27, v26, v30, vcc
	v_cndmask_b32_e64 v26, v28, 0, vcc
	v_add_f64 v[4:5], v[14:15], -v[4:5]
	v_add_f64 v[10:11], v[10:11], -v[16:17]
	v_fma_f64 v[16:17], v[18:19], s[44:45], -v[20:21]
	v_add_f64 v[4:5], v[12:13], -v[4:5]
	v_add_f64 v[8:9], v[8:9], v[10:11]
	v_fma_f64 v[10:11], v[18:19], s[46:47], v[16:17]
	v_add_f64 v[4:5], v[8:9], v[4:5]
	v_add_f64 v[8:9], v[20:21], v[10:11]
	;; [unrolled: 1-line block ×3, first 2 shown]
	v_add_f64 v[20:21], v[8:9], -v[20:21]
	v_add_f64 v[16:17], v[8:9], v[12:13]
	v_add_f64 v[14:15], v[12:13], -v[14:15]
	v_add_f64 v[10:11], v[10:11], -v[20:21]
	;; [unrolled: 1-line block ×6, first 2 shown]
	v_add_f64 v[14:15], v[10:11], v[4:5]
	v_add_f64 v[8:9], v[8:9], -v[22:23]
	v_add_f64 v[8:9], v[12:13], v[8:9]
	v_add_f64 v[12:13], v[14:15], -v[10:11]
	;; [unrolled: 2-line block ×3, first 2 shown]
	v_add_f64 v[4:5], v[4:5], -v[12:13]
	v_add_f64 v[18:19], v[16:17], v[8:9]
	v_add_f64 v[10:11], v[10:11], -v[14:15]
	v_add_f64 v[12:13], v[18:19], -v[16:17]
	v_add_f64 v[4:5], v[4:5], v[10:11]
	v_mov_b32_e32 v10, 0x3fe99999
	v_cndmask_b32_e32 v11, v10, v30, vcc
	v_add_f64 v[8:9], v[8:9], -v[12:13]
	v_mov_b32_e32 v12, 0x9999999a
	v_cndmask_b32_e64 v10, v12, 0, vcc
	v_add_f64 v[4:5], v[4:5], v[8:9]
	v_add_f64 v[8:9], v[18:19], v[4:5]
	v_add_f64 v[12:13], v[8:9], -v[18:19]
	v_mul_f64 v[14:15], v[10:11], v[8:9]
	v_mul_f64 v[28:29], v[26:27], v[8:9]
	v_add_f64 v[12:13], v[4:5], -v[12:13]
	v_fma_f64 v[4:5], v[10:11], v[8:9], -v[14:15]
	v_cmp_class_f64_e64 s[0:1], v[14:15], s33
	v_fma_f64 v[8:9], v[26:27], v[8:9], -v[28:29]
	v_cmp_class_f64_e64 vcc, v[28:29], s33
	v_fma_f64 v[10:11], v[10:11], v[12:13], v[4:5]
	v_fma_f64 v[8:9], v[26:27], v[12:13], v[8:9]
	v_add_f64 v[16:17], v[14:15], v[10:11]
	v_cndmask_b32_e64 v19, v17, v15, s[0:1]
	v_cndmask_b32_e64 v18, v16, v14, s[0:1]
	v_mul_f64 v[4:5], v[18:19], s[48:49]
	v_add_f64 v[14:15], v[16:17], -v[14:15]
	v_cmp_nlt_f64_e64 s[2:3], s[58:59], v[18:19]
	v_cmp_ngt_f64_e64 s[4:5], s[60:61], v[18:19]
	v_cmp_neq_f64_e64 s[0:1], |v[18:19]|, s[52:53]
	v_rndne_f64_e32 v[20:21], v[4:5]
	v_add_f64 v[10:11], v[10:11], -v[14:15]
	v_fma_f64 v[4:5], v[20:21], s[50:51], v[18:19]
	v_cndmask_b32_e64 v11, 0, v11, s[0:1]
	v_cndmask_b32_e64 v10, 0, v10, s[0:1]
	v_fma_f64 v[22:23], v[20:21], s[54:55], v[4:5]
	v_mov_b32_e32 v4, s80
	v_mov_b32_e32 v5, s81
	v_cvt_i32_f64_e32 v20, v[20:21]
	v_fma_f64 v[24:25], v[22:23], s[56:57], v[4:5]
	v_fma_f64 v[24:25], v[22:23], v[24:25], s[62:63]
	;; [unrolled: 1-line block ×5, first 2 shown]
	v_add_f64 v[24:25], v[28:29], v[8:9]
	v_fma_f64 v[12:13], v[22:23], v[12:13], s[70:71]
	v_cndmask_b32_e32 v17, v25, v29, vcc
	v_cndmask_b32_e32 v16, v24, v28, vcc
	v_mul_f64 v[26:27], v[16:17], s[48:49]
	v_add_f64 v[24:25], v[24:25], -v[28:29]
	v_cmp_neq_f64_e64 vcc, |v[16:17]|, s[52:53]
	v_cmp_nlt_f64_e64 s[6:7], s[58:59], v[16:17]
	v_cmp_ngt_f64_e64 s[8:9], s[60:61], v[16:17]
	v_fma_f64 v[12:13], v[22:23], v[12:13], s[72:73]
	v_rndne_f64_e32 v[26:27], v[26:27]
	v_add_f64 v[8:9], v[8:9], -v[24:25]
	v_fma_f64 v[12:13], v[22:23], v[12:13], s[74:75]
	v_fma_f64 v[28:29], v[26:27], s[50:51], v[16:17]
	v_cvt_i32_f64_e32 v14, v[26:27]
	v_cndmask_b32_e32 v16, 0, v9, vcc
	v_fma_f64 v[12:13], v[22:23], v[12:13], s[76:77]
	v_fma_f64 v[28:29], v[26:27], s[54:55], v[28:29]
	v_fma_f64 v[12:13], v[22:23], v[12:13], 1.0
	v_fma_f64 v[12:13], v[22:23], v[12:13], 1.0
	v_fma_f64 v[22:23], v[28:29], s[56:57], v[4:5]
	v_ldexp_f64 v[12:13], v[12:13], v20
	v_fma_f64 v[22:23], v[28:29], v[22:23], s[62:63]
	v_cndmask_b32_e64 v13, v31, v13, s[2:3]
	v_fma_f64 v[22:23], v[28:29], v[22:23], s[64:65]
	v_cndmask_b32_e64 v9, 0, v13, s[4:5]
	v_fma_f64 v[22:23], v[28:29], v[22:23], s[66:67]
	v_fma_f64 v[22:23], v[28:29], v[22:23], s[68:69]
	;; [unrolled: 1-line block ×6, first 2 shown]
	v_fma_f64 v[22:23], v[28:29], v[22:23], 1.0
	v_fma_f64 v[22:23], v[28:29], v[22:23], 1.0
	v_ldexp_f64 v[14:15], v[22:23], v14
	v_cndmask_b32_e64 v18, v31, v15, s[6:7]
	v_cndmask_b32_e32 v15, 0, v8, vcc
	s_and_b64 vcc, s[4:5], s[2:3]
	v_cndmask_b32_e32 v8, 0, v12, vcc
	s_and_b64 vcc, s[8:9], s[6:7]
	v_cndmask_b32_e64 v13, 0, v18, s[8:9]
	v_cndmask_b32_e32 v12, 0, v14, vcc
	v_fma_f64 v[10:11], v[8:9], v[10:11], v[8:9]
	v_fma_f64 v[14:15], v[12:13], v[15:16], v[12:13]
	v_cmp_class_f64_e64 s[0:1], v[12:13], s33
	v_cmp_class_f64_e64 vcc, v[8:9], s33
	v_cmp_eq_f64_e64 s[2:3], s[52:53], v[6:7]
	v_cmp_eq_f64_e64 s[4:5], 0, v[6:7]
	v_cndmask_b32_e32 v7, v11, v9, vcc
	v_cndmask_b32_e64 v9, v15, v13, s[0:1]
	v_cndmask_b32_e64 v6, v31, 0, s[4:5]
	;; [unrolled: 1-line block ×3, first 2 shown]
	v_and_b32_e32 v7, 0x7fffffff, v7
	v_and_b32_e32 v12, 0x7fffffff, v9
	s_or_b64 s[0:1], s[4:5], s[2:3]
	v_cndmask_b32_e64 v9, v7, v6, s[0:1]
	v_cndmask_b32_e64 v7, v12, v6, s[0:1]
	;; [unrolled: 1-line block ×3, first 2 shown]
	v_add_f64 v[6:7], v[6:7], 1.0
	v_cndmask_b32_e32 v8, v10, v8, vcc
	v_cndmask_b32_e64 v8, v8, 0, s[0:1]
	v_frexp_mant_f64_e64 v[11:12], |v[6:7]|
	v_cmp_eq_f64_e64 s[4:5], 0, v[6:7]
	v_cmp_class_f64_e64 s[18:19], v[6:7], s33
	v_cmp_gt_f64_e64 s[2:3], s[20:21], v[11:12]
	v_cndmask_b32_e64 v13, 0, 1, s[2:3]
	v_ldexp_f64 v[11:12], v[11:12], v13
	v_add_f64 v[13:14], v[11:12], 1.0
	v_add_f64 v[19:20], v[11:12], -1.0
	v_rcp_f64_e32 v[15:16], v[13:14]
	v_add_f64 v[21:22], v[13:14], -1.0
	v_add_f64 v[11:12], v[11:12], -v[21:22]
	v_fma_f64 v[17:18], -v[13:14], v[15:16], 1.0
	v_fma_f64 v[15:16], v[17:18], v[15:16], v[15:16]
	v_fma_f64 v[17:18], -v[13:14], v[15:16], 1.0
	v_fma_f64 v[15:16], v[17:18], v[15:16], v[15:16]
	v_mul_f64 v[17:18], v[19:20], v[15:16]
	v_mul_f64 v[23:24], v[13:14], v[17:18]
	v_fma_f64 v[13:14], v[17:18], v[13:14], -v[23:24]
	v_fma_f64 v[11:12], v[17:18], v[11:12], v[13:14]
	v_add_f64 v[13:14], v[23:24], v[11:12]
	v_add_f64 v[21:22], v[19:20], -v[13:14]
	v_add_f64 v[23:24], v[13:14], -v[23:24]
	;; [unrolled: 1-line block ×5, first 2 shown]
	v_add_f64 v[11:12], v[11:12], v[13:14]
	v_add_f64 v[11:12], v[21:22], v[11:12]
	v_mul_f64 v[11:12], v[15:16], v[11:12]
	v_add_f64 v[13:14], v[17:18], v[11:12]
	v_add_f64 v[15:16], v[13:14], -v[17:18]
	v_mul_f64 v[17:18], v[13:14], v[13:14]
	v_add_f64 v[11:12], v[11:12], -v[15:16]
	v_fma_f64 v[15:16], v[13:14], v[13:14], -v[17:18]
	v_add_f64 v[19:20], v[11:12], v[11:12]
	v_fma_f64 v[15:16], v[13:14], v[19:20], v[15:16]
	v_add_f64 v[19:20], v[17:18], v[15:16]
	v_fma_f64 v[2:3], v[19:20], s[22:23], v[2:3]
	v_add_f64 v[17:18], v[19:20], -v[17:18]
	v_mul_f64 v[25:26], v[13:14], v[19:20]
	v_fma_f64 v[2:3], v[19:20], v[2:3], s[24:25]
	v_add_f64 v[15:16], v[15:16], -v[17:18]
	v_fma_f64 v[2:3], v[19:20], v[2:3], s[26:27]
	v_fma_f64 v[2:3], v[19:20], v[2:3], s[28:29]
	;; [unrolled: 1-line block ×6, first 2 shown]
	v_mul_f64 v[21:22], v[19:20], v[2:3]
	v_fma_f64 v[17:18], v[19:20], v[2:3], -v[21:22]
	v_fma_f64 v[2:3], v[15:16], v[2:3], v[17:18]
	v_add_f64 v[17:18], v[21:22], v[2:3]
	v_add_f64 v[21:22], v[17:18], -v[21:22]
	v_add_f64 v[23:24], v[17:18], s[20:21]
	v_add_f64 v[2:3], v[2:3], -v[21:22]
	v_add_f64 v[21:22], v[23:24], s[40:41]
	v_add_f64 v[2:3], v[2:3], s[42:43]
	v_add_f64 v[17:18], v[17:18], -v[21:22]
	v_fma_f64 v[21:22], v[19:20], v[13:14], -v[25:26]
	v_add_f64 v[2:3], v[2:3], v[17:18]
	v_fma_f64 v[19:20], v[19:20], v[11:12], v[21:22]
	v_ldexp_f64 v[11:12], v[11:12], 1
	v_add_f64 v[17:18], v[23:24], v[2:3]
	v_fma_f64 v[15:16], v[15:16], v[13:14], v[19:20]
	v_ldexp_f64 v[13:14], v[13:14], 1
	v_add_f64 v[21:22], v[23:24], -v[17:18]
	v_add_f64 v[19:20], v[25:26], v[15:16]
	v_add_f64 v[2:3], v[2:3], v[21:22]
	v_mul_f64 v[23:24], v[19:20], v[17:18]
	v_add_f64 v[25:26], v[19:20], -v[25:26]
	v_fma_f64 v[21:22], v[19:20], v[17:18], -v[23:24]
	v_add_f64 v[15:16], v[15:16], -v[25:26]
	v_fma_f64 v[2:3], v[19:20], v[2:3], v[21:22]
	v_fma_f64 v[2:3], v[15:16], v[17:18], v[2:3]
	v_frexp_exp_i32_f64_e32 v17, v[6:7]
	v_add_f64 v[15:16], v[23:24], v[2:3]
	v_subbrev_co_u32_e64 v21, s[2:3], 0, v17, s[2:3]
	v_cvt_f64_i32_e32 v[21:22], v21
	v_cmp_eq_f64_e64 s[2:3], 1.0, v[6:7]
	v_add_f64 v[17:18], v[13:14], v[15:16]
	v_add_f64 v[19:20], v[15:16], -v[23:24]
	v_mul_f64 v[23:24], v[21:22], s[44:45]
	v_add_f64 v[13:14], v[17:18], -v[13:14]
	v_add_f64 v[2:3], v[2:3], -v[19:20]
	v_fma_f64 v[19:20], v[21:22], s[44:45], -v[23:24]
	v_add_f64 v[13:14], v[15:16], -v[13:14]
	v_add_f64 v[2:3], v[11:12], v[2:3]
	v_fma_f64 v[11:12], v[21:22], s[46:47], v[19:20]
	v_add_f64 v[2:3], v[2:3], v[13:14]
	v_add_f64 v[13:14], v[23:24], v[11:12]
	;; [unrolled: 1-line block ×3, first 2 shown]
	v_add_f64 v[23:24], v[13:14], -v[23:24]
	v_add_f64 v[19:20], v[13:14], v[15:16]
	v_add_f64 v[17:18], v[15:16], -v[17:18]
	v_add_f64 v[11:12], v[11:12], -v[23:24]
	;; [unrolled: 1-line block ×6, first 2 shown]
	v_add_f64 v[17:18], v[11:12], v[2:3]
	v_add_f64 v[13:14], v[13:14], -v[25:26]
	v_add_f64 v[13:14], v[15:16], v[13:14]
	v_add_f64 v[15:16], v[17:18], -v[11:12]
	;; [unrolled: 2-line block ×3, first 2 shown]
	v_add_f64 v[2:3], v[2:3], -v[15:16]
	v_add_f64 v[21:22], v[19:20], v[13:14]
	v_add_f64 v[11:12], v[11:12], -v[17:18]
	v_add_f64 v[15:16], v[21:22], -v[19:20]
	v_add_f64 v[2:3], v[2:3], v[11:12]
	v_add_f64 v[11:12], v[13:14], -v[15:16]
	v_mov_b32_e32 v13, 0xbff71c71
	v_mov_b32_e32 v15, 0xc71c71c7
	v_cndmask_b32_e64 v14, v13, v30, s[2:3]
	v_cndmask_b32_e64 v13, v15, 0, s[2:3]
	v_cmp_gt_f64_e64 s[6:7], 0, v[13:14]
	v_add_f64 v[2:3], v[2:3], v[11:12]
	v_add_f64 v[11:12], v[21:22], v[2:3]
	v_add_f64 v[15:16], v[11:12], -v[21:22]
	v_mul_f64 v[17:18], v[13:14], v[11:12]
	v_add_f64 v[2:3], v[2:3], -v[15:16]
	v_fma_f64 v[11:12], v[13:14], v[11:12], -v[17:18]
	v_cmp_class_f64_e64 s[2:3], v[17:18], s33
	v_fma_f64 v[2:3], v[13:14], v[2:3], v[11:12]
	v_add_f64 v[11:12], v[17:18], v[2:3]
	v_cndmask_b32_e64 v16, v12, v18, s[2:3]
	v_cndmask_b32_e64 v15, v11, v17, s[2:3]
	v_mul_f64 v[19:20], v[15:16], s[48:49]
	v_add_f64 v[11:12], v[11:12], -v[17:18]
	s_mov_b32 s2, 0x99999999
	s_mov_b32 s3, 0xbff99999
	v_mul_f64 v[8:9], v[8:9], s[2:3]
	v_cmp_neq_f64_e64 vcc, |v[15:16]|, s[52:53]
	v_cmp_nlt_f64_e64 s[0:1], s[58:59], v[15:16]
	v_cmp_ngt_f64_e64 s[2:3], s[60:61], v[15:16]
	v_rndne_f64_e32 v[19:20], v[19:20]
	v_add_f64 v[2:3], v[2:3], -v[11:12]
	v_trunc_f64_e32 v[17:18], v[13:14]
	v_fma_f64 v[21:22], v[19:20], s[50:51], v[15:16]
	v_cndmask_b32_e32 v3, 0, v3, vcc
	v_cndmask_b32_e32 v2, 0, v2, vcc
	s_and_b64 vcc, s[2:3], s[0:1]
	v_cmp_eq_f64_e64 s[8:9], v[17:18], v[13:14]
	v_fma_f64 v[21:22], v[19:20], s[54:55], v[21:22]
	v_cvt_i32_f64_e32 v19, v[19:20]
	v_fma_f64 v[4:5], v[21:22], s[56:57], v[4:5]
	v_fma_f64 v[4:5], v[21:22], v[4:5], s[62:63]
	;; [unrolled: 1-line block ×9, first 2 shown]
	v_fma_f64 v[4:5], v[21:22], v[4:5], 1.0
	v_fma_f64 v[4:5], v[21:22], v[4:5], 1.0
	v_mul_f64 v[21:22], v[13:14], 0.5
	v_ldexp_f64 v[4:5], v[4:5], v19
	v_trunc_f64_e32 v[19:20], v[21:22]
	v_cndmask_b32_e64 v5, v31, v5, s[0:1]
	v_cmp_neq_f64_e64 s[10:11], v[19:20], v[21:22]
	v_cndmask_b32_e64 v5, 0, v5, s[2:3]
	v_cndmask_b32_e32 v4, 0, v4, vcc
	v_fma_f64 v[2:3], v[4:5], v[2:3], v[4:5]
	v_cmp_class_f64_e64 vcc, v[4:5], s33
	s_xor_b64 s[0:1], s[4:5], s[6:7]
	v_cndmask_b32_e64 v10, v31, 0, s[0:1]
	s_and_b64 s[0:1], s[8:9], s[10:11]
	v_cndmask_b32_e64 v11, v30, v7, s[0:1]
	v_cndmask_b32_e64 v12, 0, v7, s[0:1]
	v_bfi_b32 v10, s82, v10, v12
	v_cndmask_b32_e32 v3, v3, v5, vcc
	v_cndmask_b32_e32 v2, v2, v4, vcc
	v_bfi_b32 v3, s82, v3, v11
	s_or_b64 vcc, s[4:5], s[18:19]
	v_cndmask_b32_e32 v5, v3, v10, vcc
	v_cndmask_b32_e64 v4, v2, 0, vcc
	v_cmp_o_f64_e32 vcc, v[6:7], v[6:7]
	v_mul_f64 v[2:3], v[8:9], s[14:15]
	v_cndmask_b32_e32 v4, 0, v4, vcc
	v_cndmask_b32_e32 v5, v32, v5, vcc
	v_mul_f64 v[4:5], v[2:3], v[4:5]
.LBB0_5:
	s_or_b64 exec, exec, s[12:13]
	v_mov_b32_e32 v2, s17
	v_add_co_u32_e32 v0, vcc, s16, v0
	v_addc_co_u32_e32 v1, vcc, v2, v1, vcc
	global_store_dwordx2 v[0:1], v[4:5], off
.LBB0_6:
	s_endpgm
	.section	.rodata,"a",@progbits
	.p2align	6, 0x0
	.amdhsa_kernel _Z12vanGenuchtenPKdS0_PdS1_S1_i
		.amdhsa_group_segment_fixed_size 0
		.amdhsa_private_segment_fixed_size 0
		.amdhsa_kernarg_size 304
		.amdhsa_user_sgpr_count 6
		.amdhsa_user_sgpr_private_segment_buffer 1
		.amdhsa_user_sgpr_dispatch_ptr 0
		.amdhsa_user_sgpr_queue_ptr 0
		.amdhsa_user_sgpr_kernarg_segment_ptr 1
		.amdhsa_user_sgpr_dispatch_id 0
		.amdhsa_user_sgpr_flat_scratch_init 0
		.amdhsa_user_sgpr_private_segment_size 0
		.amdhsa_uses_dynamic_stack 0
		.amdhsa_system_sgpr_private_segment_wavefront_offset 0
		.amdhsa_system_sgpr_workgroup_id_x 1
		.amdhsa_system_sgpr_workgroup_id_y 0
		.amdhsa_system_sgpr_workgroup_id_z 0
		.amdhsa_system_sgpr_workgroup_info 0
		.amdhsa_system_vgpr_workitem_id 0
		.amdhsa_next_free_vgpr 35
		.amdhsa_next_free_sgpr 83
		.amdhsa_reserve_vcc 1
		.amdhsa_reserve_flat_scratch 0
		.amdhsa_float_round_mode_32 0
		.amdhsa_float_round_mode_16_64 0
		.amdhsa_float_denorm_mode_32 3
		.amdhsa_float_denorm_mode_16_64 3
		.amdhsa_dx10_clamp 1
		.amdhsa_ieee_mode 1
		.amdhsa_fp16_overflow 0
		.amdhsa_exception_fp_ieee_invalid_op 0
		.amdhsa_exception_fp_denorm_src 0
		.amdhsa_exception_fp_ieee_div_zero 0
		.amdhsa_exception_fp_ieee_overflow 0
		.amdhsa_exception_fp_ieee_underflow 0
		.amdhsa_exception_fp_ieee_inexact 0
		.amdhsa_exception_int_div_zero 0
	.end_amdhsa_kernel
	.text
.Lfunc_end0:
	.size	_Z12vanGenuchtenPKdS0_PdS1_S1_i, .Lfunc_end0-_Z12vanGenuchtenPKdS0_PdS1_S1_i
                                        ; -- End function
	.set _Z12vanGenuchtenPKdS0_PdS1_S1_i.num_vgpr, 35
	.set _Z12vanGenuchtenPKdS0_PdS1_S1_i.num_agpr, 0
	.set _Z12vanGenuchtenPKdS0_PdS1_S1_i.numbered_sgpr, 83
	.set _Z12vanGenuchtenPKdS0_PdS1_S1_i.num_named_barrier, 0
	.set _Z12vanGenuchtenPKdS0_PdS1_S1_i.private_seg_size, 0
	.set _Z12vanGenuchtenPKdS0_PdS1_S1_i.uses_vcc, 1
	.set _Z12vanGenuchtenPKdS0_PdS1_S1_i.uses_flat_scratch, 0
	.set _Z12vanGenuchtenPKdS0_PdS1_S1_i.has_dyn_sized_stack, 0
	.set _Z12vanGenuchtenPKdS0_PdS1_S1_i.has_recursion, 0
	.set _Z12vanGenuchtenPKdS0_PdS1_S1_i.has_indirect_call, 0
	.section	.AMDGPU.csdata,"",@progbits
; Kernel info:
; codeLenInByte = 9900
; TotalNumSgprs: 87
; NumVgprs: 35
; ScratchSize: 0
; MemoryBound: 0
; FloatMode: 240
; IeeeMode: 1
; LDSByteSize: 0 bytes/workgroup (compile time only)
; SGPRBlocks: 10
; VGPRBlocks: 8
; NumSGPRsForWavesPerEU: 87
; NumVGPRsForWavesPerEU: 35
; Occupancy: 7
; WaveLimiterHint : 0
; COMPUTE_PGM_RSRC2:SCRATCH_EN: 0
; COMPUTE_PGM_RSRC2:USER_SGPR: 6
; COMPUTE_PGM_RSRC2:TRAP_HANDLER: 0
; COMPUTE_PGM_RSRC2:TGID_X_EN: 1
; COMPUTE_PGM_RSRC2:TGID_Y_EN: 0
; COMPUTE_PGM_RSRC2:TGID_Z_EN: 0
; COMPUTE_PGM_RSRC2:TIDIG_COMP_CNT: 0
	.section	.AMDGPU.gpr_maximums,"",@progbits
	.set amdgpu.max_num_vgpr, 0
	.set amdgpu.max_num_agpr, 0
	.set amdgpu.max_num_sgpr, 0
	.section	.AMDGPU.csdata,"",@progbits
	.type	__hip_cuid_728b70ce60796f25,@object ; @__hip_cuid_728b70ce60796f25
	.section	.bss,"aw",@nobits
	.globl	__hip_cuid_728b70ce60796f25
__hip_cuid_728b70ce60796f25:
	.byte	0                               ; 0x0
	.size	__hip_cuid_728b70ce60796f25, 1

	.ident	"AMD clang version 22.0.0git (https://github.com/RadeonOpenCompute/llvm-project roc-7.2.4 26084 f58b06dce1f9c15707c5f808fd002e18c2accf7e)"
	.section	".note.GNU-stack","",@progbits
	.addrsig
	.addrsig_sym __hip_cuid_728b70ce60796f25
	.amdgpu_metadata
---
amdhsa.kernels:
  - .args:
      - .actual_access:  read_only
        .address_space:  global
        .offset:         0
        .size:           8
        .value_kind:     global_buffer
      - .actual_access:  read_only
        .address_space:  global
        .offset:         8
        .size:           8
        .value_kind:     global_buffer
      - .actual_access:  write_only
        .address_space:  global
        .offset:         16
        .size:           8
        .value_kind:     global_buffer
      - .actual_access:  write_only
        .address_space:  global
        .offset:         24
        .size:           8
        .value_kind:     global_buffer
      - .actual_access:  write_only
        .address_space:  global
        .offset:         32
        .size:           8
        .value_kind:     global_buffer
      - .offset:         40
        .size:           4
        .value_kind:     by_value
      - .offset:         48
        .size:           4
        .value_kind:     hidden_block_count_x
      - .offset:         52
        .size:           4
        .value_kind:     hidden_block_count_y
      - .offset:         56
        .size:           4
        .value_kind:     hidden_block_count_z
      - .offset:         60
        .size:           2
        .value_kind:     hidden_group_size_x
      - .offset:         62
        .size:           2
        .value_kind:     hidden_group_size_y
      - .offset:         64
        .size:           2
        .value_kind:     hidden_group_size_z
      - .offset:         66
        .size:           2
        .value_kind:     hidden_remainder_x
      - .offset:         68
        .size:           2
        .value_kind:     hidden_remainder_y
      - .offset:         70
        .size:           2
        .value_kind:     hidden_remainder_z
      - .offset:         88
        .size:           8
        .value_kind:     hidden_global_offset_x
      - .offset:         96
        .size:           8
        .value_kind:     hidden_global_offset_y
      - .offset:         104
        .size:           8
        .value_kind:     hidden_global_offset_z
      - .offset:         112
        .size:           2
        .value_kind:     hidden_grid_dims
    .group_segment_fixed_size: 0
    .kernarg_segment_align: 8
    .kernarg_segment_size: 304
    .language:       OpenCL C
    .language_version:
      - 2
      - 0
    .max_flat_workgroup_size: 1024
    .name:           _Z12vanGenuchtenPKdS0_PdS1_S1_i
    .private_segment_fixed_size: 0
    .sgpr_count:     87
    .sgpr_spill_count: 0
    .symbol:         _Z12vanGenuchtenPKdS0_PdS1_S1_i.kd
    .uniform_work_group_size: 1
    .uses_dynamic_stack: false
    .vgpr_count:     35
    .vgpr_spill_count: 0
    .wavefront_size: 64
amdhsa.target:   amdgcn-amd-amdhsa--gfx906
amdhsa.version:
  - 1
  - 2
...

	.end_amdgpu_metadata
